;; amdgpu-corpus repo=ROCm/rocFFT kind=compiled arch=gfx1030 opt=O3
	.text
	.amdgcn_target "amdgcn-amd-amdhsa--gfx1030"
	.amdhsa_code_object_version 6
	.protected	bluestein_single_back_len192_dim1_dp_op_CI_CI ; -- Begin function bluestein_single_back_len192_dim1_dp_op_CI_CI
	.globl	bluestein_single_back_len192_dim1_dp_op_CI_CI
	.p2align	8
	.type	bluestein_single_back_len192_dim1_dp_op_CI_CI,@function
bluestein_single_back_len192_dim1_dp_op_CI_CI: ; @bluestein_single_back_len192_dim1_dp_op_CI_CI
; %bb.0:
	s_load_dwordx4 s[12:15], s[4:5], 0x28
	v_lshrrev_b32_e32 v48, 4, v0
	v_mov_b32_e32 v85, 0
	s_mov_b32 s0, exec_lo
	v_lshl_or_b32 v84, s6, 3, v48
	s_waitcnt lgkmcnt(0)
	v_cmpx_gt_u64_e64 s[12:13], v[84:85]
	s_cbranch_execz .LBB0_2
; %bb.1:
	s_clause 0x1
	s_load_dwordx4 s[0:3], s[4:5], 0x18
	s_load_dwordx4 s[8:11], s[4:5], 0x0
	v_and_b32_e32 v147, 15, v0
	v_mul_u32_u24_e32 v86, 0xc0, v48
	s_mov_b32 s13, 0xbfebb67a
	v_lshlrev_b32_e32 v150, 4, v147
	v_or_b32_e32 v151, 0x800, v150
	v_or_b32_e32 v154, 0xa00, v150
	;; [unrolled: 1-line block ×4, first 2 shown]
	v_lshl_or_b32 v148, v86, 4, v150
	s_waitcnt lgkmcnt(0)
	s_load_dwordx4 s[16:19], s[0:1], 0x0
	s_add_u32 s6, s8, 0xc00
	s_addc_u32 s7, s9, 0
	s_waitcnt lgkmcnt(0)
	v_mad_u64_u32 v[0:1], null, s18, v84, 0
	v_mad_u64_u32 v[2:3], null, s16, v147, 0
	s_lshl_b64 s[0:1], s[16:17], 9
	s_mul_i32 s12, s17, 0xfffff700
	s_sub_i32 s12, s12, s16
	v_mad_u64_u32 v[4:5], null, s19, v84, v[1:2]
	v_mad_u64_u32 v[5:6], null, s17, v147, v[3:4]
	v_mov_b32_e32 v1, v4
	v_lshlrev_b64 v[0:1], 4, v[0:1]
	v_mov_b32_e32 v3, v5
	global_load_dwordx4 v[4:7], v154, s[8:9]
	v_lshlrev_b64 v[2:3], 4, v[2:3]
	v_add_co_u32 v0, vcc_lo, s14, v0
	v_add_co_ci_u32_e32 v1, vcc_lo, s15, v1, vcc_lo
	v_add_co_u32 v20, vcc_lo, v0, v2
	v_add_co_ci_u32_e32 v21, vcc_lo, v1, v3, vcc_lo
	global_load_dwordx4 v[0:3], v151, s[8:9]
	v_add_co_u32 v40, vcc_lo, v20, s0
	v_add_co_ci_u32_e32 v41, vcc_lo, s1, v21, vcc_lo
	s_clause 0x1
	global_load_dwordx4 v[24:27], v150, s[8:9]
	global_load_dwordx4 v[8:11], v150, s[8:9] offset:256
	v_add_co_u32 v42, vcc_lo, v40, s0
	v_add_co_ci_u32_e32 v43, vcc_lo, s1, v41, vcc_lo
	s_clause 0x3
	global_load_dwordx4 v[28:31], v150, s[8:9] offset:512
	global_load_dwordx4 v[12:15], v150, s[8:9] offset:768
	;; [unrolled: 1-line block ×4, first 2 shown]
	v_add_co_u32 v44, vcc_lo, v42, s0
	v_add_co_ci_u32_e32 v45, vcc_lo, s1, v43, vcc_lo
	global_load_dwordx4 v[49:52], v[20:21], off
	s_clause 0x1
	global_load_dwordx4 v[36:39], v150, s[8:9] offset:1536
	global_load_dwordx4 v[20:23], v150, s[8:9] offset:1792
	v_add_co_u32 v46, vcc_lo, v44, s0
	v_add_co_ci_u32_e32 v47, vcc_lo, s1, v45, vcc_lo
	s_clause 0x1
	global_load_dwordx4 v[53:56], v[40:41], off
	global_load_dwordx4 v[57:60], v[42:43], off
	v_add_co_u32 v69, vcc_lo, v46, s0
	v_add_co_ci_u32_e32 v70, vcc_lo, s1, v47, vcc_lo
	s_clause 0x1
	global_load_dwordx4 v[61:64], v[44:45], off
	global_load_dwordx4 v[65:68], v[46:47], off
	v_mad_u64_u32 v[73:74], null, 0xfffff700, s16, v[69:70]
	global_load_dwordx4 v[69:72], v[69:70], off
	v_add_nc_u32_e32 v74, s12, v74
	v_add_co_u32 v40, vcc_lo, v73, s0
	v_add_co_ci_u32_e32 v41, vcc_lo, s1, v74, vcc_lo
	v_add_co_u32 v42, vcc_lo, v40, s0
	global_load_dwordx4 v[73:76], v[73:74], off
	v_add_co_ci_u32_e32 v43, vcc_lo, s1, v41, vcc_lo
	v_add_co_u32 v44, vcc_lo, v42, s0
	global_load_dwordx4 v[77:80], v[40:41], off
	;; [unrolled: 3-line block ×3, first 2 shown]
	v_add_co_ci_u32_e32 v47, vcc_lo, s1, v45, vcc_lo
	v_add_co_u32 v81, vcc_lo, v46, s0
	v_add_co_ci_u32_e32 v82, vcc_lo, s1, v47, vcc_lo
	global_load_dwordx4 v[91:94], v[44:45], off
	global_load_dwordx4 v[40:43], v152, s[8:9]
	global_load_dwordx4 v[95:98], v[46:47], off
	global_load_dwordx4 v[44:47], v153, s[8:9]
	global_load_dwordx4 v[99:102], v[81:82], off
	s_load_dwordx4 s[0:3], s[2:3], 0x0
	s_mov_b32 s8, 0xe8584caa
	s_mov_b32 s9, 0x3febb67a
	s_mov_b32 s12, s8
	s_waitcnt vmcnt(15)
	v_mul_f64 v[81:82], v[51:52], v[26:27]
	v_mul_f64 v[103:104], v[49:50], v[26:27]
	s_waitcnt vmcnt(12)
	v_mul_f64 v[105:106], v[55:56], v[30:31]
	v_mul_f64 v[107:108], v[53:54], v[30:31]
	;; [unrolled: 3-line block ×5, first 2 shown]
	v_fma_f64 v[48:49], v[49:50], v[24:25], v[81:82]
	v_fma_f64 v[50:51], v[51:52], v[24:25], -v[103:104]
	s_waitcnt vmcnt(8)
	v_mul_f64 v[81:82], v[71:72], v[6:7]
	v_mul_f64 v[103:104], v[69:70], v[6:7]
	v_fma_f64 v[52:53], v[53:54], v[28:29], v[105:106]
	v_fma_f64 v[54:55], v[55:56], v[28:29], -v[107:108]
	v_fma_f64 v[56:57], v[57:58], v[32:33], v[109:110]
	v_fma_f64 v[58:59], v[59:60], v[32:33], -v[111:112]
	s_waitcnt vmcnt(7)
	v_mul_f64 v[121:122], v[75:76], v[10:11]
	v_mul_f64 v[123:124], v[73:74], v[10:11]
	v_fma_f64 v[60:61], v[61:62], v[36:37], v[113:114]
	v_fma_f64 v[62:63], v[63:64], v[36:37], -v[115:116]
	v_fma_f64 v[64:65], v[65:66], v[0:1], v[117:118]
	s_waitcnt vmcnt(6)
	v_mul_f64 v[125:126], v[79:80], v[14:15]
	v_mul_f64 v[127:128], v[77:78], v[14:15]
	v_fma_f64 v[66:67], v[67:68], v[0:1], -v[119:120]
	s_waitcnt vmcnt(5)
	v_mul_f64 v[129:130], v[89:90], v[18:19]
	v_mul_f64 v[131:132], v[87:88], v[18:19]
	s_waitcnt vmcnt(4)
	v_mul_f64 v[133:134], v[93:94], v[22:23]
	v_mul_f64 v[135:136], v[91:92], v[22:23]
	;; [unrolled: 3-line block ×4, first 2 shown]
	v_fma_f64 v[68:69], v[69:70], v[4:5], v[81:82]
	v_fma_f64 v[70:71], v[71:72], v[4:5], -v[103:104]
	v_fma_f64 v[72:73], v[73:74], v[8:9], v[121:122]
	v_fma_f64 v[74:75], v[75:76], v[8:9], -v[123:124]
	v_or_b32_e32 v121, 32, v147
	v_mul_u32_u24_e32 v122, 6, v147
	v_fma_f64 v[76:77], v[77:78], v[12:13], v[125:126]
	v_fma_f64 v[78:79], v[79:80], v[12:13], -v[127:128]
	v_fma_f64 v[80:81], v[87:88], v[16:17], v[129:130]
	v_fma_f64 v[82:83], v[89:90], v[16:17], -v[131:132]
	;; [unrolled: 2-line block ×5, first 2 shown]
	v_or_b32_e32 v99, v86, v147
	s_waitcnt lgkmcnt(0)
	v_mad_u64_u32 v[144:145], null, s2, v84, 0
	v_lshlrev_b32_e32 v149, 4, v99
	ds_write_b128 v149, v[48:51]
	ds_write_b128 v149, v[52:55] offset:512
	ds_write_b128 v148, v[56:59] offset:1024
	ds_write_b128 v148, v[60:63] offset:1536
	ds_write_b128 v148, v[64:67] offset:2048
	ds_write_b128 v148, v[68:71] offset:2560
	ds_write_b128 v149, v[72:75] offset:256
	ds_write_b128 v149, v[76:79] offset:768
	ds_write_b128 v148, v[80:83] offset:1280
	ds_write_b128 v148, v[87:90] offset:1792
	ds_write_b128 v148, v[91:94] offset:2304
	ds_write_b128 v148, v[95:98] offset:2816
	s_waitcnt lgkmcnt(0)
	s_barrier
	buffer_gl0_inv
	ds_read_b128 v[48:51], v148 offset:2560
	ds_read_b128 v[52:55], v148 offset:1536
	;; [unrolled: 1-line block ×4, first 2 shown]
	v_mul_lo_u16 v68, v147, 43
	ds_read_b128 v[64:67], v149 offset:512
	v_mul_lo_u16 v73, v121, 43
	v_mov_b32_e32 v72, v145
	v_lshrrev_b16 v92, 8, v68
	ds_read_b128 v[68:71], v149 offset:768
	v_lshrrev_b16 v91, 8, v73
	v_mad_u64_u32 v[145:146], null, s3, v84, v[72:73]
	v_mul_lo_u16 v93, v92, 6
	ds_read_b128 v[72:75], v149
	ds_read_b128 v[76:79], v148 offset:2048
	ds_read_b128 v[80:83], v148 offset:1024
	v_add_lshl_u32 v146, v86, v122, 4
	v_or_b32_e32 v84, 16, v147
	s_waitcnt lgkmcnt(7)
	v_add_f64 v[87:88], v[54:55], v[50:51]
	v_add_f64 v[89:90], v[52:53], v[48:49]
	s_waitcnt lgkmcnt(5)
	v_add_f64 v[101:102], v[62:63], v[58:59]
	v_add_f64 v[103:104], v[60:61], v[56:57]
	v_add_f64 v[105:106], v[54:55], -v[50:51]
	v_add_f64 v[107:108], v[52:53], -v[48:49]
	;; [unrolled: 1-line block ×4, first 2 shown]
	s_waitcnt lgkmcnt(4)
	v_add_f64 v[52:53], v[64:65], v[52:53]
	v_add_f64 v[54:55], v[66:67], v[54:55]
	s_waitcnt lgkmcnt(3)
	v_add_f64 v[60:61], v[68:69], v[60:61]
	v_add_f64 v[62:63], v[70:71], v[62:63]
	v_cmp_gt_u64_e32 vcc_lo, 24, v[84:85]
	s_waitcnt lgkmcnt(0)
	v_add_f64 v[125:126], v[82:83], v[78:79]
	v_add_f64 v[127:128], v[82:83], -v[78:79]
	v_add_f64 v[82:83], v[74:75], v[82:83]
	v_add_f64 v[123:124], v[72:73], v[80:81]
	v_fma_f64 v[109:110], v[87:88], -0.5, v[66:67]
	v_fma_f64 v[111:112], v[89:90], -0.5, v[64:65]
	;; [unrolled: 1-line block ×4, first 2 shown]
	v_sub_nc_u16 v87, v147, v93
	ds_read_b128 v[93:96], v148 offset:1280
	ds_read_b128 v[97:100], v148 offset:2304
	v_mul_lo_u16 v89, v91, 6
	ds_read_b128 v[101:104], v149 offset:256
	v_add_f64 v[52:53], v[52:53], v[48:49]
	v_add_f64 v[54:55], v[54:55], v[50:51]
	;; [unrolled: 1-line block ×3, first 2 shown]
	v_sub_nc_u16 v89, v121, v89
	v_add_f64 v[121:122], v[80:81], v[76:77]
	v_add_f64 v[80:81], v[80:81], -v[76:77]
	v_add_f64 v[62:63], v[62:63], v[58:59]
	v_mul_lo_u16 v88, v84, 43
	v_and_b32_e32 v137, 0xff, v87
	v_add_f64 v[78:79], v[82:83], v[78:79]
	v_add_f64 v[76:77], v[123:124], v[76:77]
	s_waitcnt lgkmcnt(0)
	v_lshrrev_b16 v88, 8, v88
	s_barrier
	v_fma_f64 v[129:130], v[107:108], s[12:13], v[109:110]
	v_fma_f64 v[131:132], v[105:106], s[12:13], v[111:112]
	v_fma_f64 v[105:106], v[105:106], s[8:9], v[111:112]
	v_fma_f64 v[107:108], v[107:108], s[8:9], v[109:110]
	v_add_f64 v[109:110], v[93:94], v[97:98]
	v_add_f64 v[111:112], v[95:96], v[99:100]
	v_fma_f64 v[133:134], v[115:116], s[12:13], v[117:118]
	v_fma_f64 v[135:136], v[113:114], s[12:13], v[119:120]
	;; [unrolled: 1-line block ×4, first 2 shown]
	v_add_f64 v[64:65], v[101:102], v[93:94]
	v_add_f64 v[66:67], v[103:104], v[95:96]
	v_fma_f64 v[68:69], v[121:122], -0.5, v[72:73]
	v_add_f64 v[70:71], v[95:96], -v[99:100]
	v_fma_f64 v[72:73], v[125:126], -0.5, v[74:75]
	v_add_f64 v[74:75], v[93:94], -v[97:98]
	v_mul_lo_u16 v90, v88, 6
	v_add_f64 v[50:51], v[78:79], v[54:55]
	v_add_f64 v[48:49], v[76:77], v[52:53]
	v_add_f64 v[52:53], v[76:77], -v[52:53]
	v_add_f64 v[54:55], v[78:79], -v[54:55]
	v_sub_nc_u16 v90, v84, v90
	v_mul_f64 v[93:94], v[129:130], s[8:9]
	v_mul_f64 v[95:96], v[131:132], -0.5
	v_mul_f64 v[117:118], v[105:106], s[12:13]
	v_mul_f64 v[119:120], v[107:108], -0.5
	v_fma_f64 v[101:102], v[109:110], -0.5, v[101:102]
	v_fma_f64 v[103:104], v[111:112], -0.5, v[103:104]
	v_mul_f64 v[82:83], v[133:134], s[8:9]
	v_mul_f64 v[109:110], v[135:136], -0.5
	v_mul_f64 v[111:112], v[113:114], s[12:13]
	v_mul_f64 v[121:122], v[115:116], -0.5
	v_add_f64 v[64:65], v[64:65], v[97:98]
	v_add_f64 v[66:67], v[66:67], v[99:100]
	v_fma_f64 v[97:98], v[127:128], s[8:9], v[68:69]
	v_fma_f64 v[99:100], v[127:128], s[12:13], v[68:69]
	;; [unrolled: 1-line block ×4, first 2 shown]
	buffer_gl0_inv
	v_mul_lo_u16 v88, v88, 24
	v_fma_f64 v[72:73], v[105:106], 0.5, v[93:94]
	v_fma_f64 v[93:94], v[107:108], s[8:9], v[95:96]
	v_fma_f64 v[95:96], v[129:130], 0.5, v[117:118]
	v_fma_f64 v[105:106], v[131:132], s[12:13], v[119:120]
	v_fma_f64 v[107:108], v[70:71], s[8:9], v[101:102]
	;; [unrolled: 1-line block ×3, first 2 shown]
	v_fma_f64 v[113:114], v[113:114], 0.5, v[82:83]
	v_fma_f64 v[101:102], v[70:71], s[12:13], v[101:102]
	v_fma_f64 v[111:112], v[133:134], 0.5, v[111:112]
	v_fma_f64 v[103:104], v[74:75], s[8:9], v[103:104]
	v_fma_f64 v[109:110], v[115:116], s[8:9], v[109:110]
	;; [unrolled: 1-line block ×3, first 2 shown]
	v_add_f64 v[56:57], v[64:65], v[60:61]
	v_add_f64 v[58:59], v[66:67], v[62:63]
	v_add_f64 v[60:61], v[64:65], -v[60:61]
	v_add_f64 v[62:63], v[66:67], -v[62:63]
	v_mul_u32_u24_e32 v119, 6, v84
	v_add_lshl_u32 v155, v86, v119, 4
	v_add_f64 v[64:65], v[97:98], v[72:73]
	v_add_f64 v[68:69], v[99:100], v[93:94]
	;; [unrolled: 1-line block ×4, first 2 shown]
	v_add_f64 v[72:73], v[97:98], -v[72:73]
	v_add_f64 v[74:75], v[123:124], -v[95:96]
	;; [unrolled: 1-line block ×4, first 2 shown]
	v_add_f64 v[80:81], v[107:108], v[113:114]
	v_add_f64 v[82:83], v[117:118], v[111:112]
	;; [unrolled: 1-line block ×4, first 2 shown]
	v_add_f64 v[97:98], v[107:108], -v[113:114]
	v_add_f64 v[99:100], v[117:118], -v[111:112]
	;; [unrolled: 1-line block ×4, first 2 shown]
	v_and_b32_e32 v107, 0xff, v90
	v_mad_u64_u32 v[105:106], null, v137, 48, s[10:11]
	v_and_b32_e32 v109, 0xff, v89
	ds_write_b128 v146, v[48:51]
	ds_write_b128 v146, v[52:55] offset:48
	ds_write_b128 v146, v[64:67] offset:16
	;; [unrolled: 1-line block ×5, first 2 shown]
	ds_write_b128 v155, v[56:59]
	ds_write_b128 v155, v[80:83] offset:16
	ds_write_b128 v155, v[93:96] offset:32
	;; [unrolled: 1-line block ×5, first 2 shown]
	v_mad_u64_u32 v[107:108], null, v107, 48, s[10:11]
	s_waitcnt lgkmcnt(0)
	s_barrier
	buffer_gl0_inv
	s_clause 0x1
	global_load_dwordx4 v[60:63], v[105:106], off
	global_load_dwordx4 v[52:55], v[105:106], off offset:16
	v_mad_u64_u32 v[72:73], null, v109, 48, s[10:11]
	s_clause 0x6
	global_load_dwordx4 v[68:71], v[105:106], off offset:32
	global_load_dwordx4 v[64:67], v[107:108], off
	global_load_dwordx4 v[56:59], v[107:108], off offset:16
	global_load_dwordx4 v[48:51], v[107:108], off offset:32
	global_load_dwordx4 v[80:83], v[72:73], off
	global_load_dwordx4 v[76:79], v[72:73], off offset:16
	global_load_dwordx4 v[72:75], v[72:73], off offset:32
	ds_read_b128 v[93:96], v149 offset:768
	ds_read_b128 v[97:100], v149 offset:1536
	;; [unrolled: 1-line block ×10, first 2 shown]
	ds_read_b128 v[133:136], v149
	ds_read_b128 v[137:140], v149 offset:256
	s_waitcnt vmcnt(0) lgkmcnt(0)
	s_barrier
	buffer_gl0_inv
	v_mul_f64 v[162:163], v[103:104], v[70:71]
	v_mul_f64 v[141:142], v[95:96], v[62:63]
	;; [unrolled: 1-line block ×18, first 2 shown]
	v_fma_f64 v[101:102], v[101:102], v[68:69], -v[162:163]
	v_fma_f64 v[93:94], v[93:94], v[60:61], -v[141:142]
	v_fma_f64 v[95:96], v[95:96], v[60:61], v[156:157]
	v_fma_f64 v[97:98], v[97:98], v[52:53], -v[158:159]
	v_fma_f64 v[99:100], v[99:100], v[52:53], v[160:161]
	v_fma_f64 v[103:104], v[103:104], v[68:69], v[164:165]
	v_fma_f64 v[105:106], v[105:106], v[64:65], -v[166:167]
	v_fma_f64 v[107:108], v[107:108], v[64:65], v[168:169]
	v_fma_f64 v[109:110], v[109:110], v[56:57], -v[170:171]
	;; [unrolled: 2-line block ×6, first 2 shown]
	v_fma_f64 v[127:128], v[127:128], v[72:73], v[188:189]
	v_add_f64 v[141:142], v[133:134], -v[97:98]
	v_add_f64 v[156:157], v[135:136], -v[99:100]
	;; [unrolled: 1-line block ×12, first 2 shown]
	v_fma_f64 v[121:122], v[133:134], 2.0, -v[141:142]
	v_fma_f64 v[123:124], v[135:136], 2.0, -v[156:157]
	;; [unrolled: 1-line block ×4, first 2 shown]
	v_add_f64 v[93:94], v[156:157], v[97:98]
	v_fma_f64 v[125:126], v[137:138], 2.0, -v[158:159]
	v_fma_f64 v[127:128], v[139:140], 2.0, -v[160:161]
	;; [unrolled: 1-line block ×4, first 2 shown]
	v_add_f64 v[97:98], v[160:161], v[101:102]
	v_add_f64 v[95:96], v[158:159], -v[103:104]
	v_fma_f64 v[133:134], v[129:130], 2.0, -v[162:163]
	v_fma_f64 v[135:136], v[131:132], 2.0, -v[164:165]
	;; [unrolled: 1-line block ×4, first 2 shown]
	v_mul_lo_u16 v129, v92, 24
	v_mul_lo_u16 v130, v91, 24
	v_add_f64 v[91:92], v[141:142], -v[99:100]
	v_add_f64 v[109:110], v[164:165], v[109:110]
	v_or_b32_e32 v140, v88, v90
	v_or_b32_e32 v87, v129, v87
	;; [unrolled: 1-line block ×3, first 2 shown]
	v_add_nc_u32_e32 v137, -8, v147
	v_add_f64 v[99:100], v[121:122], -v[113:114]
	v_add_f64 v[101:102], v[123:124], -v[115:116]
	v_and_b32_e32 v138, 0xff, v87
	v_and_b32_e32 v139, 0xff, v89
	v_fma_f64 v[89:90], v[156:157], 2.0, -v[93:94]
	v_add_f64 v[103:104], v[125:126], -v[105:106]
	v_add_f64 v[105:106], v[127:128], -v[107:108]
	;; [unrolled: 1-line block ×3, first 2 shown]
	v_fma_f64 v[115:116], v[158:159], 2.0, -v[95:96]
	v_cndmask_b32_e32 v156, v137, v84, vcc_lo
	v_add_lshl_u32 v159, v86, v138, 4
	v_add_f64 v[111:112], v[133:134], -v[117:118]
	v_add_f64 v[113:114], v[135:136], -v[119:120]
	v_fma_f64 v[117:118], v[160:161], 2.0, -v[97:98]
	v_mad_u64_u32 v[160:161], null, v147, 48, s[10:11]
	v_fma_f64 v[87:88], v[141:142], 2.0, -v[91:92]
	v_fma_f64 v[129:130], v[164:165], 2.0, -v[109:110]
	v_mul_hi_i32_i24_e32 v137, 48, v156
	v_add_lshl_u32 v157, v86, v139, 4
	v_fma_f64 v[119:120], v[121:122], 2.0, -v[99:100]
	v_fma_f64 v[121:122], v[123:124], 2.0, -v[101:102]
	;; [unrolled: 1-line block ×7, first 2 shown]
	v_and_b32_e32 v135, 0xff, v140
	v_mul_i32_i24_e32 v136, 48, v156
	v_add_lshl_u32 v158, v86, v135, 4
	ds_write_b128 v159, v[91:94] offset:288
	ds_write_b128 v159, v[87:90] offset:96
	;; [unrolled: 1-line block ×3, first 2 shown]
	ds_write_b128 v159, v[119:122]
	ds_write_b128 v158, v[123:126]
	ds_write_b128 v158, v[115:118] offset:96
	ds_write_b128 v158, v[103:106] offset:192
	;; [unrolled: 1-line block ×3, first 2 shown]
	ds_write_b128 v157, v[131:134]
	ds_write_b128 v157, v[127:130] offset:96
	ds_write_b128 v157, v[111:114] offset:192
	;; [unrolled: 1-line block ×3, first 2 shown]
	v_add_co_u32 v87, vcc_lo, s10, v136
	s_waitcnt lgkmcnt(0)
	s_barrier
	buffer_gl0_inv
	global_load_dwordx4 v[108:111], v[160:161], off offset:288
	v_add_co_ci_u32_e32 v88, vcc_lo, s11, v137, vcc_lo
	s_clause 0x7
	global_load_dwordx4 v[112:115], v[160:161], off offset:304
	global_load_dwordx4 v[104:107], v[160:161], off offset:320
	;; [unrolled: 1-line block ×8, first 2 shown]
	ds_read_b128 v[87:90], v149 offset:768
	ds_read_b128 v[91:94], v149 offset:1536
	;; [unrolled: 1-line block ×10, first 2 shown]
	ds_read_b128 v[180:183], v149
	ds_read_b128 v[184:187], v149 offset:256
	v_cmp_lt_u64_e32 vcc_lo, 23, v[84:85]
	v_add_co_u32 v103, s2, s10, v150
	s_waitcnt vmcnt(0) lgkmcnt(0)
	s_barrier
	buffer_gl0_inv
	v_cndmask_b32_e64 v84, 0, 0x60, vcc_lo
	v_or_b32_e32 v84, v84, v156
	v_add_lshl_u32 v156, v86, v84, 4
	v_mul_f64 v[192:193], v[93:94], v[114:115]
	v_mul_f64 v[194:195], v[91:92], v[114:115]
	;; [unrolled: 1-line block ×18, first 2 shown]
	v_fma_f64 v[91:92], v[91:92], v[112:113], -v[192:193]
	v_fma_f64 v[93:94], v[93:94], v[112:113], v[194:195]
	v_fma_f64 v[95:96], v[95:96], v[104:105], -v[196:197]
	v_fma_f64 v[87:88], v[87:88], v[108:109], -v[188:189]
	v_fma_f64 v[89:90], v[89:90], v[108:109], v[190:191]
	v_fma_f64 v[97:98], v[97:98], v[104:105], v[198:199]
	v_fma_f64 v[99:100], v[99:100], v[124:125], -v[200:201]
	v_fma_f64 v[101:102], v[101:102], v[124:125], v[202:203]
	v_fma_f64 v[128:129], v[128:129], v[120:121], -v[204:205]
	;; [unrolled: 2-line block ×6, first 2 shown]
	v_fma_f64 v[174:175], v[174:175], v[132:133], v[222:223]
	v_add_f64 v[188:189], v[180:181], -v[91:92]
	v_add_f64 v[190:191], v[182:183], -v[93:94]
	;; [unrolled: 1-line block ×12, first 2 shown]
	v_fma_f64 v[170:171], v[180:181], 2.0, -v[188:189]
	v_fma_f64 v[174:175], v[182:183], 2.0, -v[190:191]
	v_fma_f64 v[97:98], v[87:88], 2.0, -v[91:92]
	v_fma_f64 v[162:163], v[89:90], 2.0, -v[93:94]
	v_add_f64 v[87:88], v[188:189], -v[93:94]
	v_add_f64 v[89:90], v[190:191], v[91:92]
	v_fma_f64 v[180:181], v[184:185], 2.0, -v[192:193]
	v_fma_f64 v[182:183], v[186:187], 2.0, -v[194:195]
	v_fma_f64 v[99:100], v[99:100], 2.0, -v[128:129]
	v_fma_f64 v[101:102], v[101:102], 2.0, -v[95:96]
	v_add_f64 v[91:92], v[192:193], -v[95:96]
	v_add_f64 v[93:94], v[194:195], v[128:129]
	;; [unrolled: 6-line block ×3, first 2 shown]
	v_add_f64 v[95:96], v[170:171], -v[97:98]
	v_add_f64 v[97:98], v[174:175], -v[162:163]
	;; [unrolled: 1-line block ×4, first 2 shown]
	v_fma_f64 v[168:169], v[192:193], 2.0, -v[91:92]
	v_add_f64 v[160:161], v[184:185], -v[164:165]
	v_add_f64 v[162:163], v[186:187], -v[166:167]
	v_fma_f64 v[164:165], v[188:189], 2.0, -v[87:88]
	v_fma_f64 v[166:167], v[190:191], 2.0, -v[89:90]
	v_add_co_ci_u32_e64 v188, null, s11, 0, s2
	s_load_dwordx2 s[2:3], s[4:5], 0x38
	v_fma_f64 v[172:173], v[170:171], 2.0, -v[95:96]
	v_fma_f64 v[170:171], v[194:195], 2.0, -v[93:94]
	;; [unrolled: 1-line block ×9, first 2 shown]
	ds_write_b128 v149, v[87:90] offset:1152
	ds_write_b128 v149, v[164:167] offset:384
	;; [unrolled: 1-line block ×3, first 2 shown]
	ds_write_b128 v149, v[172:175]
	ds_write_b128 v156, v[176:179]
	ds_write_b128 v156, v[168:171] offset:384
	ds_write_b128 v156, v[99:102] offset:768
	;; [unrolled: 1-line block ×7, first 2 shown]
	s_waitcnt lgkmcnt(0)
	s_barrier
	buffer_gl0_inv
	global_load_dwordx4 v[84:87], v150, s[10:11] offset:1440
	v_add_co_u32 v128, vcc_lo, 0x800, v103
	v_add_co_ci_u32_e32 v129, vcc_lo, 0, v188, vcc_lo
	s_clause 0x4
	global_load_dwordx4 v[92:95], v150, s[10:11] offset:1696
	global_load_dwordx4 v[88:91], v150, s[10:11] offset:1952
	global_load_dwordx4 v[96:99], v[128:129], off offset:160
	global_load_dwordx4 v[100:103], v[128:129], off offset:416
	global_load_dwordx4 v[128:131], v[128:129], off offset:672
	ds_read_b128 v[160:163], v149 offset:1536
	ds_read_b128 v[164:167], v149 offset:1792
	;; [unrolled: 1-line block ×6, first 2 shown]
	ds_read_b128 v[184:187], v149
	ds_read_b128 v[188:191], v149 offset:256
	ds_read_b128 v[192:195], v149 offset:512
	;; [unrolled: 1-line block ×3, first 2 shown]
	s_waitcnt vmcnt(5) lgkmcnt(9)
	v_mul_f64 v[200:201], v[162:163], v[86:87]
	v_mul_f64 v[202:203], v[160:161], v[86:87]
	s_waitcnt vmcnt(4) lgkmcnt(8)
	v_mul_f64 v[204:205], v[166:167], v[94:95]
	v_mul_f64 v[206:207], v[164:165], v[94:95]
	;; [unrolled: 3-line block ×6, first 2 shown]
	v_fma_f64 v[200:201], v[160:161], v[84:85], -v[200:201]
	v_fma_f64 v[202:203], v[162:163], v[84:85], v[202:203]
	v_fma_f64 v[204:205], v[164:165], v[92:93], -v[204:205]
	v_fma_f64 v[206:207], v[166:167], v[92:93], v[206:207]
	v_fma_f64 v[208:209], v[168:169], v[88:89], -v[208:209]
	v_fma_f64 v[210:211], v[170:171], v[88:89], v[210:211]
	v_fma_f64 v[212:213], v[172:173], v[96:97], -v[212:213]
	v_fma_f64 v[214:215], v[174:175], v[96:97], v[214:215]
	v_fma_f64 v[216:217], v[176:177], v[100:101], -v[216:217]
	v_fma_f64 v[218:219], v[178:179], v[100:101], v[218:219]
	v_fma_f64 v[220:221], v[180:181], v[128:129], -v[220:221]
	ds_read_b128 v[160:163], v149 offset:1024
	ds_read_b128 v[164:167], v149 offset:1280
	v_fma_f64 v[222:223], v[182:183], v[128:129], v[222:223]
	s_waitcnt lgkmcnt(5)
	v_add_f64 v[168:169], v[184:185], -v[200:201]
	v_add_f64 v[170:171], v[186:187], -v[202:203]
	s_waitcnt lgkmcnt(4)
	v_add_f64 v[172:173], v[188:189], -v[204:205]
	v_add_f64 v[174:175], v[190:191], -v[206:207]
	;; [unrolled: 3-line block ×6, first 2 shown]
	v_fma_f64 v[184:185], v[184:185], 2.0, -v[168:169]
	v_fma_f64 v[186:187], v[186:187], 2.0, -v[170:171]
	;; [unrolled: 1-line block ×12, first 2 shown]
	ds_write_b128 v149, v[184:187]
	ds_write_b128 v148, v[168:171] offset:1536
	ds_write_b128 v149, v[188:191] offset:256
	;; [unrolled: 1-line block ×11, first 2 shown]
	s_waitcnt lgkmcnt(0)
	s_barrier
	buffer_gl0_inv
	s_clause 0x9
	global_load_dwordx4 v[160:163], v150, s[6:7]
	global_load_dwordx4 v[164:167], v150, s[6:7] offset:512
	global_load_dwordx4 v[168:171], v150, s[6:7] offset:1024
	global_load_dwordx4 v[172:175], v150, s[6:7] offset:1536
	global_load_dwordx4 v[176:179], v151, s[6:7]
	global_load_dwordx4 v[180:183], v154, s[6:7]
	global_load_dwordx4 v[184:187], v150, s[6:7] offset:256
	global_load_dwordx4 v[188:191], v150, s[6:7] offset:768
	;; [unrolled: 1-line block ×4, first 2 shown]
	ds_read_b128 v[200:203], v149
	ds_read_b128 v[204:207], v149 offset:512
	ds_read_b128 v[208:211], v149 offset:1024
	;; [unrolled: 1-line block ×3, first 2 shown]
	s_clause 0x1
	global_load_dwordx4 v[216:219], v152, s[6:7]
	global_load_dwordx4 v[150:153], v153, s[6:7]
	s_waitcnt vmcnt(11) lgkmcnt(3)
	v_mul_f64 v[220:221], v[202:203], v[162:163]
	v_mul_f64 v[162:163], v[200:201], v[162:163]
	s_waitcnt vmcnt(10) lgkmcnt(2)
	v_mul_f64 v[222:223], v[206:207], v[166:167]
	v_mul_f64 v[166:167], v[204:205], v[166:167]
	;; [unrolled: 3-line block ×4, first 2 shown]
	v_fma_f64 v[200:201], v[200:201], v[160:161], -v[220:221]
	v_fma_f64 v[202:203], v[202:203], v[160:161], v[162:163]
	v_fma_f64 v[160:161], v[204:205], v[164:165], -v[222:223]
	v_fma_f64 v[162:163], v[206:207], v[164:165], v[166:167]
	v_fma_f64 v[164:165], v[208:209], v[168:169], -v[224:225]
	v_fma_f64 v[166:167], v[210:211], v[168:169], v[170:171]
	v_fma_f64 v[168:169], v[212:213], v[172:173], -v[226:227]
	v_fma_f64 v[170:171], v[214:215], v[172:173], v[174:175]
	ds_write_b128 v149, v[200:203]
	ds_write_b128 v149, v[160:163] offset:512
	ds_write_b128 v149, v[164:167] offset:1024
	ds_write_b128 v149, v[168:171] offset:1536
	ds_read_b128 v[160:163], v148 offset:2048
	ds_read_b128 v[164:167], v148 offset:2560
	s_waitcnt vmcnt(7) lgkmcnt(1)
	v_mul_f64 v[168:169], v[162:163], v[178:179]
	v_mul_f64 v[170:171], v[160:161], v[178:179]
	s_waitcnt vmcnt(6) lgkmcnt(0)
	v_mul_f64 v[172:173], v[166:167], v[182:183]
	v_mul_f64 v[174:175], v[164:165], v[182:183]
	v_fma_f64 v[160:161], v[160:161], v[176:177], -v[168:169]
	v_fma_f64 v[162:163], v[162:163], v[176:177], v[170:171]
	v_fma_f64 v[164:165], v[164:165], v[180:181], -v[172:173]
	v_fma_f64 v[166:167], v[166:167], v[180:181], v[174:175]
	ds_write_b128 v148, v[160:163] offset:2048
	ds_write_b128 v148, v[164:167] offset:2560
	ds_read_b128 v[160:163], v149 offset:256
	ds_read_b128 v[164:167], v149 offset:768
	s_waitcnt vmcnt(5) lgkmcnt(1)
	v_mul_f64 v[168:169], v[162:163], v[186:187]
	v_mul_f64 v[170:171], v[160:161], v[186:187]
	s_waitcnt vmcnt(4) lgkmcnt(0)
	v_mul_f64 v[172:173], v[166:167], v[190:191]
	v_mul_f64 v[174:175], v[164:165], v[190:191]
	v_fma_f64 v[160:161], v[160:161], v[184:185], -v[168:169]
	v_fma_f64 v[162:163], v[162:163], v[184:185], v[170:171]
	v_fma_f64 v[164:165], v[164:165], v[188:189], -v[172:173]
	v_fma_f64 v[166:167], v[166:167], v[188:189], v[174:175]
	ds_write_b128 v149, v[160:163] offset:256
	ds_write_b128 v149, v[164:167] offset:768
	ds_read_b128 v[160:163], v148 offset:1280
	s_waitcnt vmcnt(3) lgkmcnt(0)
	v_mul_f64 v[164:165], v[162:163], v[194:195]
	v_mul_f64 v[166:167], v[160:161], v[194:195]
	v_fma_f64 v[160:161], v[160:161], v[192:193], -v[164:165]
	v_fma_f64 v[162:163], v[162:163], v[192:193], v[166:167]
	ds_write_b128 v148, v[160:163] offset:1280
	ds_read_b128 v[160:163], v149 offset:1792
	s_waitcnt vmcnt(2) lgkmcnt(0)
	v_mul_f64 v[164:165], v[162:163], v[198:199]
	v_mul_f64 v[166:167], v[160:161], v[198:199]
	v_fma_f64 v[160:161], v[160:161], v[196:197], -v[164:165]
	v_fma_f64 v[162:163], v[162:163], v[196:197], v[166:167]
	ds_write_b128 v149, v[160:163] offset:1792
	ds_read_b128 v[160:163], v148 offset:2304
	ds_read_b128 v[164:167], v148 offset:2816
	s_waitcnt vmcnt(1) lgkmcnt(1)
	v_mul_f64 v[168:169], v[162:163], v[218:219]
	v_mul_f64 v[170:171], v[160:161], v[218:219]
	s_waitcnt vmcnt(0) lgkmcnt(0)
	v_mul_f64 v[172:173], v[166:167], v[152:153]
	v_mul_f64 v[152:153], v[164:165], v[152:153]
	v_fma_f64 v[160:161], v[160:161], v[216:217], -v[168:169]
	v_fma_f64 v[162:163], v[162:163], v[216:217], v[170:171]
	v_fma_f64 v[164:165], v[164:165], v[150:151], -v[172:173]
	v_fma_f64 v[166:167], v[166:167], v[150:151], v[152:153]
	ds_write_b128 v148, v[160:163] offset:2304
	ds_write_b128 v148, v[164:167] offset:2816
	s_waitcnt lgkmcnt(0)
	s_barrier
	buffer_gl0_inv
	ds_read_b128 v[150:153], v149 offset:1536
	ds_read_b128 v[160:163], v148 offset:2560
	;; [unrolled: 1-line block ×7, first 2 shown]
	ds_read_b128 v[184:187], v149
	ds_read_b128 v[188:191], v148 offset:2048
	s_waitcnt lgkmcnt(7)
	v_add_f64 v[192:193], v[152:153], v[162:163]
	v_add_f64 v[204:205], v[150:151], v[160:161]
	s_waitcnt lgkmcnt(5)
	v_add_f64 v[200:201], v[170:171], v[166:167]
	v_add_f64 v[206:207], v[150:151], -v[160:161]
	v_add_f64 v[210:211], v[168:169], v[164:165]
	v_add_f64 v[212:213], v[168:169], -v[164:165]
	s_waitcnt lgkmcnt(1)
	v_add_f64 v[216:217], v[184:185], v[180:181]
	v_add_f64 v[218:219], v[186:187], v[182:183]
	s_waitcnt lgkmcnt(0)
	v_add_f64 v[220:221], v[180:181], v[188:189]
	v_add_f64 v[222:223], v[182:183], -v[190:191]
	v_add_f64 v[182:183], v[182:183], v[190:191]
	v_add_f64 v[224:225], v[152:153], -v[162:163]
	v_add_f64 v[150:151], v[172:173], v[150:151]
	v_add_f64 v[152:153], v[174:175], v[152:153]
	v_add_f64 v[180:181], v[180:181], -v[188:189]
	v_add_f64 v[168:169], v[176:177], v[168:169]
	v_fma_f64 v[208:209], v[192:193], -0.5, v[174:175]
	ds_read_b128 v[192:195], v148 offset:1280
	ds_read_b128 v[196:199], v148 offset:2304
	v_fma_f64 v[214:215], v[200:201], -0.5, v[178:179]
	v_fma_f64 v[204:205], v[204:205], -0.5, v[172:173]
	ds_read_b128 v[200:203], v149 offset:256
	v_fma_f64 v[210:211], v[210:211], -0.5, v[176:177]
	v_add_f64 v[176:177], v[216:217], v[188:189]
	s_waitcnt lgkmcnt(0)
	v_fma_f64 v[184:185], v[220:221], -0.5, v[184:185]
	s_barrier
	v_fma_f64 v[182:183], v[182:183], -0.5, v[186:187]
	buffer_gl0_inv
	v_add_f64 v[160:161], v[150:151], v[160:161]
	v_add_f64 v[162:163], v[152:153], v[162:163]
	;; [unrolled: 1-line block ×4, first 2 shown]
	v_fma_f64 v[226:227], v[206:207], s[8:9], v[208:209]
	v_fma_f64 v[172:173], v[206:207], s[12:13], v[208:209]
	v_add_f64 v[206:207], v[194:195], v[198:199]
	v_add_f64 v[208:209], v[170:171], -v[166:167]
	v_fma_f64 v[230:231], v[212:213], s[8:9], v[214:215]
	v_fma_f64 v[212:213], v[212:213], s[12:13], v[214:215]
	v_add_f64 v[174:175], v[200:201], v[192:193]
	v_add_f64 v[214:215], v[202:203], v[194:195]
	;; [unrolled: 1-line block ×4, first 2 shown]
	v_fma_f64 v[186:187], v[224:225], s[12:13], v[204:205]
	v_fma_f64 v[204:205], v[224:225], s[8:9], v[204:205]
	v_add_f64 v[194:195], v[194:195], -v[198:199]
	v_add_f64 v[192:193], v[192:193], -v[196:197]
	v_add_f64 v[150:151], v[176:177], v[160:161]
	v_add_f64 v[160:161], v[176:177], -v[160:161]
	v_fma_f64 v[200:201], v[228:229], -0.5, v[200:201]
	v_mul_f64 v[188:189], v[226:227], s[12:13]
	v_mul_f64 v[190:191], v[226:227], 0.5
	v_mul_f64 v[216:217], v[172:173], s[12:13]
	v_mul_f64 v[172:173], v[172:173], -0.5
	v_fma_f64 v[202:203], v[206:207], -0.5, v[202:203]
	v_fma_f64 v[206:207], v[208:209], s[12:13], v[210:211]
	v_mul_f64 v[218:219], v[230:231], s[12:13]
	v_mul_f64 v[220:221], v[230:231], 0.5
	v_fma_f64 v[208:209], v[208:209], s[8:9], v[210:211]
	v_mul_f64 v[210:211], v[212:213], s[12:13]
	v_mul_f64 v[212:213], v[212:213], -0.5
	v_add_f64 v[174:175], v[174:175], v[196:197]
	v_add_f64 v[196:197], v[214:215], v[198:199]
	v_fma_f64 v[198:199], v[222:223], s[12:13], v[184:185]
	v_fma_f64 v[214:215], v[180:181], s[8:9], v[182:183]
	;; [unrolled: 1-line block ×3, first 2 shown]
	v_add_f64 v[170:171], v[170:171], v[166:167]
	v_add_f64 v[152:153], v[178:179], v[162:163]
	v_add_f64 v[162:163], v[178:179], -v[162:163]
	v_fma_f64 v[222:223], v[194:195], s[12:13], v[200:201]
	v_fma_f64 v[188:189], v[186:187], 0.5, v[188:189]
	v_fma_f64 v[186:187], v[186:187], s[8:9], v[190:191]
	v_fma_f64 v[190:191], v[180:181], s[12:13], v[182:183]
	v_fma_f64 v[216:217], v[204:205], -0.5, v[216:217]
	v_fma_f64 v[204:205], v[204:205], s[8:9], v[172:173]
	v_fma_f64 v[224:225], v[192:193], s[8:9], v[202:203]
	v_fma_f64 v[200:201], v[194:195], s[8:9], v[200:201]
	v_fma_f64 v[194:195], v[206:207], 0.5, v[218:219]
	v_fma_f64 v[206:207], v[206:207], s[8:9], v[220:221]
	v_fma_f64 v[202:203], v[192:193], s[12:13], v[202:203]
	v_fma_f64 v[210:211], v[208:209], -0.5, v[210:211]
	v_fma_f64 v[208:209], v[208:209], s[8:9], v[212:213]
	v_add_f64 v[164:165], v[174:175], v[168:169]
	v_add_f64 v[168:169], v[174:175], -v[168:169]
	v_add_f64 v[166:167], v[196:197], v[170:171]
	v_add_f64 v[170:171], v[196:197], -v[170:171]
	v_add_f64 v[172:173], v[198:199], v[188:189]
	v_add_f64 v[174:175], v[214:215], v[186:187]
	v_add_f64 v[176:177], v[198:199], -v[188:189]
	v_add_f64 v[180:181], v[184:185], v[216:217]
	v_add_f64 v[182:183], v[190:191], v[204:205]
	v_add_f64 v[178:179], v[214:215], -v[186:187]
	v_add_f64 v[184:185], v[184:185], -v[216:217]
	v_add_f64 v[186:187], v[190:191], -v[204:205]
	v_add_f64 v[188:189], v[222:223], v[194:195]
	v_add_f64 v[190:191], v[224:225], v[206:207]
	;; [unrolled: 1-line block ×4, first 2 shown]
	v_add_f64 v[192:193], v[222:223], -v[194:195]
	v_add_f64 v[194:195], v[224:225], -v[206:207]
	;; [unrolled: 1-line block ×4, first 2 shown]
	ds_write_b128 v146, v[150:153]
	ds_write_b128 v146, v[160:163] offset:48
	ds_write_b128 v146, v[172:175] offset:16
	;; [unrolled: 1-line block ×5, first 2 shown]
	ds_write_b128 v155, v[164:167]
	ds_write_b128 v155, v[188:191] offset:16
	ds_write_b128 v155, v[196:199] offset:32
	ds_write_b128 v155, v[168:171] offset:48
	ds_write_b128 v155, v[192:195] offset:64
	ds_write_b128 v155, v[200:203] offset:80
	s_waitcnt lgkmcnt(0)
	s_barrier
	buffer_gl0_inv
	ds_read_b128 v[150:153], v149 offset:768
	ds_read_b128 v[160:163], v149 offset:1536
	;; [unrolled: 1-line block ×10, first 2 shown]
	ds_read_b128 v[196:199], v149
	ds_read_b128 v[200:203], v149 offset:256
	s_waitcnt lgkmcnt(0)
	s_barrier
	buffer_gl0_inv
	v_mul_f64 v[154:155], v[62:63], v[152:153]
	v_mul_f64 v[62:63], v[62:63], v[150:151]
	;; [unrolled: 1-line block ×18, first 2 shown]
	v_fma_f64 v[150:151], v[60:61], v[150:151], v[154:155]
	v_fma_f64 v[60:61], v[60:61], v[152:153], -v[62:63]
	v_fma_f64 v[62:63], v[52:53], v[160:161], v[204:205]
	v_fma_f64 v[52:53], v[52:53], v[162:163], -v[54:55]
	v_fma_f64 v[54:55], v[68:69], v[164:165], v[206:207]
	v_fma_f64 v[68:69], v[68:69], v[166:167], -v[70:71]
	v_fma_f64 v[70:71], v[64:65], v[168:169], v[208:209]
	v_fma_f64 v[64:65], v[64:65], v[170:171], -v[66:67]
	v_fma_f64 v[66:67], v[56:57], v[172:173], v[210:211]
	v_fma_f64 v[56:57], v[56:57], v[174:175], -v[58:59]
	v_fma_f64 v[58:59], v[48:49], v[176:177], v[212:213]
	v_fma_f64 v[48:49], v[48:49], v[178:179], -v[50:51]
	v_fma_f64 v[50:51], v[80:81], v[180:181], v[214:215]
	v_fma_f64 v[80:81], v[80:81], v[182:183], -v[82:83]
	v_fma_f64 v[82:83], v[76:77], v[184:185], v[216:217]
	v_fma_f64 v[76:77], v[76:77], v[186:187], -v[78:79]
	v_fma_f64 v[78:79], v[72:73], v[188:189], v[218:219]
	v_fma_f64 v[72:73], v[72:73], v[190:191], -v[74:75]
	v_add_f64 v[74:75], v[196:197], -v[62:63]
	v_add_f64 v[152:153], v[198:199], -v[52:53]
	v_add_f64 v[52:53], v[150:151], -v[54:55]
	v_add_f64 v[54:55], v[60:61], -v[68:69]
	v_add_f64 v[154:155], v[200:201], -v[66:67]
	v_add_f64 v[160:161], v[202:203], -v[56:57]
	v_add_f64 v[66:67], v[70:71], -v[58:59]
	v_add_f64 v[56:57], v[64:65], -v[48:49]
	v_add_f64 v[162:163], v[192:193], -v[82:83]
	v_add_f64 v[168:169], v[194:195], -v[76:77]
	v_add_f64 v[76:77], v[50:51], -v[78:79]
	v_add_f64 v[68:69], v[80:81], -v[72:73]
	v_fma_f64 v[78:79], v[196:197], 2.0, -v[74:75]
	v_fma_f64 v[82:83], v[198:199], 2.0, -v[152:153]
	;; [unrolled: 1-line block ×4, first 2 shown]
	v_add_f64 v[48:49], v[74:75], v[54:55]
	v_fma_f64 v[150:151], v[200:201], 2.0, -v[154:155]
	v_fma_f64 v[164:165], v[202:203], 2.0, -v[160:161]
	;; [unrolled: 1-line block ×4, first 2 shown]
	v_add_f64 v[54:55], v[160:161], -v[66:67]
	v_fma_f64 v[166:167], v[192:193], 2.0, -v[162:163]
	v_fma_f64 v[170:171], v[194:195], 2.0, -v[168:169]
	;; [unrolled: 1-line block ×4, first 2 shown]
	v_add_f64 v[50:51], v[152:153], -v[52:53]
	v_add_f64 v[52:53], v[154:155], v[56:57]
	v_add_f64 v[66:67], v[168:169], -v[76:77]
	v_add_f64 v[56:57], v[78:79], -v[58:59]
	;; [unrolled: 1-line block ×5, first 2 shown]
	v_add_f64 v[64:65], v[162:163], v[68:69]
	v_add_f64 v[68:69], v[166:167], -v[70:71]
	v_add_f64 v[70:71], v[170:171], -v[72:73]
	v_fma_f64 v[72:73], v[74:75], 2.0, -v[48:49]
	v_fma_f64 v[74:75], v[152:153], 2.0, -v[50:51]
	;; [unrolled: 1-line block ×12, first 2 shown]
	ds_write_b128 v159, v[48:51] offset:288
	ds_write_b128 v159, v[72:75] offset:96
	;; [unrolled: 1-line block ×3, first 2 shown]
	ds_write_b128 v159, v[80:83]
	ds_write_b128 v158, v[150:153]
	ds_write_b128 v158, v[76:79] offset:96
	ds_write_b128 v158, v[60:63] offset:192
	;; [unrolled: 1-line block ×3, first 2 shown]
	ds_write_b128 v157, v[164:167]
	ds_write_b128 v157, v[160:163] offset:96
	ds_write_b128 v157, v[68:71] offset:192
	;; [unrolled: 1-line block ×3, first 2 shown]
	s_waitcnt lgkmcnt(0)
	s_barrier
	buffer_gl0_inv
	ds_read_b128 v[48:51], v149 offset:768
	ds_read_b128 v[52:55], v149 offset:1536
	;; [unrolled: 1-line block ×10, first 2 shown]
	ds_read_b128 v[157:160], v149
	ds_read_b128 v[161:164], v149 offset:256
	s_waitcnt lgkmcnt(0)
	s_barrier
	buffer_gl0_inv
	v_mul_f64 v[154:155], v[110:111], v[50:51]
	v_mul_f64 v[110:111], v[110:111], v[48:49]
	;; [unrolled: 1-line block ×18, first 2 shown]
	v_fma_f64 v[48:49], v[108:109], v[48:49], v[154:155]
	v_fma_f64 v[50:51], v[108:109], v[50:51], -v[110:111]
	v_fma_f64 v[52:53], v[112:113], v[52:53], v[165:166]
	v_fma_f64 v[54:55], v[112:113], v[54:55], -v[114:115]
	;; [unrolled: 2-line block ×9, first 2 shown]
	v_add_f64 v[104:105], v[157:158], -v[52:53]
	v_add_f64 v[106:107], v[159:160], -v[54:55]
	;; [unrolled: 1-line block ×12, first 2 shown]
	v_fma_f64 v[80:81], v[157:158], 2.0, -v[104:105]
	v_fma_f64 v[82:83], v[159:160], 2.0, -v[106:107]
	v_fma_f64 v[68:69], v[48:49], 2.0, -v[52:53]
	v_fma_f64 v[70:71], v[50:51], 2.0, -v[54:55]
	v_add_f64 v[48:49], v[104:105], v[54:55]
	v_add_f64 v[50:51], v[106:107], -v[52:53]
	v_fma_f64 v[116:117], v[161:162], 2.0, -v[108:109]
	v_fma_f64 v[118:119], v[163:164], 2.0, -v[110:111]
	v_fma_f64 v[60:61], v[60:61], 2.0, -v[56:57]
	v_fma_f64 v[62:63], v[62:63], 2.0, -v[58:59]
	v_add_f64 v[52:53], v[108:109], v[58:59]
	v_add_f64 v[54:55], v[110:111], -v[56:57]
	;; [unrolled: 6-line block ×3, first 2 shown]
	v_add_f64 v[56:57], v[80:81], -v[68:69]
	v_add_f64 v[58:59], v[82:83], -v[70:71]
	;; [unrolled: 1-line block ×4, first 2 shown]
	v_fma_f64 v[76:77], v[108:109], 2.0, -v[52:53]
	v_fma_f64 v[78:79], v[110:111], 2.0, -v[54:55]
	v_add_f64 v[68:69], v[120:121], -v[72:73]
	v_add_f64 v[70:71], v[122:123], -v[74:75]
	v_fma_f64 v[72:73], v[104:105], 2.0, -v[48:49]
	v_fma_f64 v[74:75], v[106:107], 2.0, -v[50:51]
	;; [unrolled: 1-line block ×8, first 2 shown]
	v_mad_u64_u32 v[116:117], null, s0, v147, 0
	v_fma_f64 v[112:113], v[120:121], 2.0, -v[68:69]
	v_fma_f64 v[114:115], v[122:123], 2.0, -v[70:71]
	ds_write_b128 v149, v[48:51] offset:1152
	ds_write_b128 v149, v[72:75] offset:384
	;; [unrolled: 1-line block ×3, first 2 shown]
	ds_write_b128 v149, v[80:83]
	ds_write_b128 v156, v[104:107]
	ds_write_b128 v156, v[76:79] offset:384
	ds_write_b128 v156, v[60:63] offset:768
	;; [unrolled: 1-line block ×7, first 2 shown]
	s_waitcnt lgkmcnt(0)
	s_barrier
	buffer_gl0_inv
	ds_read_b128 v[50:53], v149 offset:1536
	ds_read_b128 v[54:57], v149 offset:1792
	;; [unrolled: 1-line block ×6, first 2 shown]
	v_mad_u64_u32 v[48:49], null, s1, v147, v[117:118]
	v_mov_b32_e32 v117, v48
	v_lshlrev_b64 v[48:49], 4, v[144:145]
	v_lshlrev_b64 v[74:75], 4, v[116:117]
	s_waitcnt lgkmcnt(4)
	v_mul_f64 v[110:111], v[94:95], v[56:57]
	v_mul_f64 v[94:95], v[94:95], v[54:55]
	;; [unrolled: 1-line block ×4, first 2 shown]
	s_waitcnt lgkmcnt(3)
	v_mul_f64 v[112:113], v[90:91], v[60:61]
	v_mul_f64 v[90:91], v[90:91], v[58:59]
	s_waitcnt lgkmcnt(2)
	v_mul_f64 v[114:115], v[98:99], v[64:65]
	v_mul_f64 v[98:99], v[98:99], v[62:63]
	;; [unrolled: 3-line block ×4, first 2 shown]
	v_add_co_u32 v48, vcc_lo, s2, v48
	v_add_co_ci_u32_e32 v49, vcc_lo, s3, v49, vcc_lo
	s_lshl_b64 s[2:3], s[0:1], 9
	v_add_co_u32 v48, vcc_lo, v48, v74
	v_add_co_ci_u32_e32 v49, vcc_lo, v49, v75, vcc_lo
	ds_read_b128 v[74:77], v149
	ds_read_b128 v[78:81], v149 offset:256
	ds_read_b128 v[102:105], v149 offset:512
	;; [unrolled: 1-line block ×3, first 2 shown]
	v_add_co_u32 v124, vcc_lo, v48, s2
	v_fma_f64 v[82:83], v[84:85], v[50:51], v[82:83]
	v_fma_f64 v[84:85], v[84:85], v[52:53], -v[86:87]
	v_fma_f64 v[86:87], v[92:93], v[54:55], v[110:111]
	v_fma_f64 v[92:93], v[92:93], v[56:57], -v[94:95]
	;; [unrolled: 2-line block ×5, first 2 shown]
	v_fma_f64 v[110:111], v[128:129], v[70:71], v[120:121]
	ds_read_b128 v[50:53], v149 offset:1024
	ds_read_b128 v[54:57], v149 offset:1280
	v_fma_f64 v[112:113], v[128:129], v[72:73], -v[122:123]
	v_add_co_ci_u32_e32 v125, vcc_lo, s3, v49, vcc_lo
	v_add_co_u32 v114, vcc_lo, v124, s2
	s_mulk_i32 s1, 0xf700
	v_add_co_ci_u32_e32 v115, vcc_lo, s3, v125, vcc_lo
	v_add_co_u32 v116, vcc_lo, v114, s2
	s_waitcnt lgkmcnt(5)
	v_add_f64 v[58:59], v[74:75], -v[82:83]
	v_add_f64 v[60:61], v[76:77], -v[84:85]
	s_waitcnt lgkmcnt(4)
	v_add_f64 v[62:63], v[78:79], -v[86:87]
	v_add_f64 v[64:65], v[80:81], -v[92:93]
	;; [unrolled: 3-line block ×5, first 2 shown]
	s_waitcnt lgkmcnt(0)
	v_add_f64 v[86:87], v[54:55], -v[110:111]
	v_add_co_ci_u32_e32 v117, vcc_lo, s3, v115, vcc_lo
	v_add_f64 v[88:89], v[56:57], -v[112:113]
	v_add_co_u32 v98, vcc_lo, v116, s2
	v_add_co_ci_u32_e32 v99, vcc_lo, s3, v117, vcc_lo
	s_sub_i32 s4, s1, s0
	v_add_co_u32 v100, vcc_lo, v98, s2
	v_add_co_ci_u32_e32 v101, vcc_lo, s3, v99, vcc_lo
	v_fma_f64 v[74:75], v[74:75], 2.0, -v[58:59]
	v_fma_f64 v[76:77], v[76:77], 2.0, -v[60:61]
	;; [unrolled: 1-line block ×11, first 2 shown]
	v_mad_u64_u32 v[102:103], null, 0xfffff700, s0, v[100:101]
	v_fma_f64 v[56:57], v[56:57], 2.0, -v[88:89]
	ds_write_b128 v149, v[58:61] offset:1536
	ds_write_b128 v149, v[62:65] offset:1792
	ds_write_b128 v149, v[74:77]
	ds_write_b128 v149, v[78:81] offset:256
	ds_write_b128 v149, v[90:93] offset:512
	;; [unrolled: 1-line block ×9, first 2 shown]
	s_waitcnt lgkmcnt(0)
	s_barrier
	buffer_gl0_inv
	ds_read_b128 v[50:53], v149
	ds_read_b128 v[54:57], v149 offset:512
	ds_read_b128 v[58:61], v149 offset:1024
	;; [unrolled: 1-line block ×11, first 2 shown]
	s_mov_b32 s0, 0x55555555
	v_add_nc_u32_e32 v103, s4, v103
	s_mov_b32 s1, 0x3f755555
	v_add_co_u32 v104, vcc_lo, v102, s2
	v_add_co_ci_u32_e32 v105, vcc_lo, s3, v103, vcc_lo
	v_add_co_u32 v106, vcc_lo, v104, s2
	v_add_co_ci_u32_e32 v107, vcc_lo, s3, v105, vcc_lo
	s_waitcnt lgkmcnt(11)
	v_mul_f64 v[108:109], v[26:27], v[52:53]
	v_mul_f64 v[26:27], v[26:27], v[50:51]
	s_waitcnt lgkmcnt(10)
	v_mul_f64 v[110:111], v[30:31], v[56:57]
	v_mul_f64 v[30:31], v[30:31], v[54:55]
	;; [unrolled: 3-line block ×12, first 2 shown]
	v_fma_f64 v[50:51], v[24:25], v[50:51], v[108:109]
	v_fma_f64 v[24:25], v[24:25], v[52:53], -v[26:27]
	v_fma_f64 v[26:27], v[28:29], v[54:55], v[110:111]
	v_fma_f64 v[28:29], v[28:29], v[56:57], -v[30:31]
	;; [unrolled: 2-line block ×12, first 2 shown]
	v_mul_f64 v[0:1], v[50:51], s[0:1]
	v_mul_f64 v[2:3], v[24:25], s[0:1]
	;; [unrolled: 1-line block ×22, first 2 shown]
	v_add_co_u32 v50, vcc_lo, v106, s2
	v_mul_f64 v[44:45], v[76:77], s[0:1]
	v_mul_f64 v[46:47], v[46:47], s[0:1]
	v_add_co_ci_u32_e32 v51, vcc_lo, s3, v107, vcc_lo
	v_add_co_u32 v52, vcc_lo, v50, s2
	v_add_co_ci_u32_e32 v53, vcc_lo, s3, v51, vcc_lo
	v_add_co_u32 v54, vcc_lo, v52, s2
	v_add_co_ci_u32_e32 v55, vcc_lo, s3, v53, vcc_lo
	global_store_dwordx4 v[48:49], v[0:3], off
	global_store_dwordx4 v[124:125], v[4:7], off
	;; [unrolled: 1-line block ×12, first 2 shown]
.LBB0_2:
	s_endpgm
	.section	.rodata,"a",@progbits
	.p2align	6, 0x0
	.amdhsa_kernel bluestein_single_back_len192_dim1_dp_op_CI_CI
		.amdhsa_group_segment_fixed_size 24576
		.amdhsa_private_segment_fixed_size 0
		.amdhsa_kernarg_size 104
		.amdhsa_user_sgpr_count 6
		.amdhsa_user_sgpr_private_segment_buffer 1
		.amdhsa_user_sgpr_dispatch_ptr 0
		.amdhsa_user_sgpr_queue_ptr 0
		.amdhsa_user_sgpr_kernarg_segment_ptr 1
		.amdhsa_user_sgpr_dispatch_id 0
		.amdhsa_user_sgpr_flat_scratch_init 0
		.amdhsa_user_sgpr_private_segment_size 0
		.amdhsa_wavefront_size32 1
		.amdhsa_uses_dynamic_stack 0
		.amdhsa_system_sgpr_private_segment_wavefront_offset 0
		.amdhsa_system_sgpr_workgroup_id_x 1
		.amdhsa_system_sgpr_workgroup_id_y 0
		.amdhsa_system_sgpr_workgroup_id_z 0
		.amdhsa_system_sgpr_workgroup_info 0
		.amdhsa_system_vgpr_workitem_id 0
		.amdhsa_next_free_vgpr 232
		.amdhsa_next_free_sgpr 20
		.amdhsa_reserve_vcc 1
		.amdhsa_reserve_flat_scratch 0
		.amdhsa_float_round_mode_32 0
		.amdhsa_float_round_mode_16_64 0
		.amdhsa_float_denorm_mode_32 3
		.amdhsa_float_denorm_mode_16_64 3
		.amdhsa_dx10_clamp 1
		.amdhsa_ieee_mode 1
		.amdhsa_fp16_overflow 0
		.amdhsa_workgroup_processor_mode 1
		.amdhsa_memory_ordered 1
		.amdhsa_forward_progress 0
		.amdhsa_shared_vgpr_count 0
		.amdhsa_exception_fp_ieee_invalid_op 0
		.amdhsa_exception_fp_denorm_src 0
		.amdhsa_exception_fp_ieee_div_zero 0
		.amdhsa_exception_fp_ieee_overflow 0
		.amdhsa_exception_fp_ieee_underflow 0
		.amdhsa_exception_fp_ieee_inexact 0
		.amdhsa_exception_int_div_zero 0
	.end_amdhsa_kernel
	.text
.Lfunc_end0:
	.size	bluestein_single_back_len192_dim1_dp_op_CI_CI, .Lfunc_end0-bluestein_single_back_len192_dim1_dp_op_CI_CI
                                        ; -- End function
	.section	.AMDGPU.csdata,"",@progbits
; Kernel info:
; codeLenInByte = 10448
; NumSgprs: 22
; NumVgprs: 232
; ScratchSize: 0
; MemoryBound: 0
; FloatMode: 240
; IeeeMode: 1
; LDSByteSize: 24576 bytes/workgroup (compile time only)
; SGPRBlocks: 2
; VGPRBlocks: 28
; NumSGPRsForWavesPerEU: 22
; NumVGPRsForWavesPerEU: 232
; Occupancy: 4
; WaveLimiterHint : 1
; COMPUTE_PGM_RSRC2:SCRATCH_EN: 0
; COMPUTE_PGM_RSRC2:USER_SGPR: 6
; COMPUTE_PGM_RSRC2:TRAP_HANDLER: 0
; COMPUTE_PGM_RSRC2:TGID_X_EN: 1
; COMPUTE_PGM_RSRC2:TGID_Y_EN: 0
; COMPUTE_PGM_RSRC2:TGID_Z_EN: 0
; COMPUTE_PGM_RSRC2:TIDIG_COMP_CNT: 0
	.text
	.p2alignl 6, 3214868480
	.fill 48, 4, 3214868480
	.type	__hip_cuid_d31a6b6f6c42d371,@object ; @__hip_cuid_d31a6b6f6c42d371
	.section	.bss,"aw",@nobits
	.globl	__hip_cuid_d31a6b6f6c42d371
__hip_cuid_d31a6b6f6c42d371:
	.byte	0                               ; 0x0
	.size	__hip_cuid_d31a6b6f6c42d371, 1

	.ident	"AMD clang version 19.0.0git (https://github.com/RadeonOpenCompute/llvm-project roc-6.4.0 25133 c7fe45cf4b819c5991fe208aaa96edf142730f1d)"
	.section	".note.GNU-stack","",@progbits
	.addrsig
	.addrsig_sym __hip_cuid_d31a6b6f6c42d371
	.amdgpu_metadata
---
amdhsa.kernels:
  - .args:
      - .actual_access:  read_only
        .address_space:  global
        .offset:         0
        .size:           8
        .value_kind:     global_buffer
      - .actual_access:  read_only
        .address_space:  global
        .offset:         8
        .size:           8
        .value_kind:     global_buffer
      - .actual_access:  read_only
        .address_space:  global
        .offset:         16
        .size:           8
        .value_kind:     global_buffer
      - .actual_access:  read_only
        .address_space:  global
        .offset:         24
        .size:           8
        .value_kind:     global_buffer
      - .actual_access:  read_only
        .address_space:  global
        .offset:         32
        .size:           8
        .value_kind:     global_buffer
      - .offset:         40
        .size:           8
        .value_kind:     by_value
      - .address_space:  global
        .offset:         48
        .size:           8
        .value_kind:     global_buffer
      - .address_space:  global
        .offset:         56
        .size:           8
        .value_kind:     global_buffer
      - .address_space:  global
        .offset:         64
        .size:           8
        .value_kind:     global_buffer
      - .address_space:  global
        .offset:         72
        .size:           8
        .value_kind:     global_buffer
      - .offset:         80
        .size:           4
        .value_kind:     by_value
      - .address_space:  global
        .offset:         88
        .size:           8
        .value_kind:     global_buffer
      - .address_space:  global
        .offset:         96
        .size:           8
        .value_kind:     global_buffer
    .group_segment_fixed_size: 24576
    .kernarg_segment_align: 8
    .kernarg_segment_size: 104
    .language:       OpenCL C
    .language_version:
      - 2
      - 0
    .max_flat_workgroup_size: 128
    .name:           bluestein_single_back_len192_dim1_dp_op_CI_CI
    .private_segment_fixed_size: 0
    .sgpr_count:     22
    .sgpr_spill_count: 0
    .symbol:         bluestein_single_back_len192_dim1_dp_op_CI_CI.kd
    .uniform_work_group_size: 1
    .uses_dynamic_stack: false
    .vgpr_count:     232
    .vgpr_spill_count: 0
    .wavefront_size: 32
    .workgroup_processor_mode: 1
amdhsa.target:   amdgcn-amd-amdhsa--gfx1030
amdhsa.version:
  - 1
  - 2
...

	.end_amdgpu_metadata
